;; amdgpu-corpus repo=ROCm/rocFFT kind=compiled arch=gfx1030 opt=O3
	.text
	.amdgcn_target "amdgcn-amd-amdhsa--gfx1030"
	.amdhsa_code_object_version 6
	.protected	fft_rtc_back_len192_factors_8_6_4_wgs_480_tpt_48_half_ip_CI_sbcc_twdbase5_3step ; -- Begin function fft_rtc_back_len192_factors_8_6_4_wgs_480_tpt_48_half_ip_CI_sbcc_twdbase5_3step
	.globl	fft_rtc_back_len192_factors_8_6_4_wgs_480_tpt_48_half_ip_CI_sbcc_twdbase5_3step
	.p2align	8
	.type	fft_rtc_back_len192_factors_8_6_4_wgs_480_tpt_48_half_ip_CI_sbcc_twdbase5_3step,@function
fft_rtc_back_len192_factors_8_6_4_wgs_480_tpt_48_half_ip_CI_sbcc_twdbase5_3step: ; @fft_rtc_back_len192_factors_8_6_4_wgs_480_tpt_48_half_ip_CI_sbcc_twdbase5_3step
; %bb.0:
	s_load_dwordx8 s[8:15], s[4:5], 0x8
	s_mov_b32 s0, exec_lo
	v_cmpx_gt_u32_e32 0x60, v0
	s_cbranch_execz .LBB0_2
; %bb.1:
	v_lshlrev_b32_e32 v1, 2, v0
	s_waitcnt lgkmcnt(0)
	global_load_dword v2, v1, s[8:9]
	v_add_nc_u32_e32 v1, 0, v1
	s_waitcnt vmcnt(0)
	ds_write_b32 v1, v2 offset:7680
.LBB0_2:
	s_or_b32 exec_lo, exec_lo, s0
	s_waitcnt lgkmcnt(0)
	s_load_dwordx2 s[16:17], s[12:13], 0x8
	s_waitcnt lgkmcnt(0)
	s_add_u32 s0, s16, -1
	s_addc_u32 s1, s17, -1
	s_add_u32 s2, 0, 0x99986000
	s_addc_u32 s3, 0, 0x59
	s_mul_hi_u32 s8, s2, -10
	s_add_i32 s3, s3, 0x19999940
	s_sub_i32 s8, s8, s2
	s_mul_i32 s18, s3, -10
	s_mul_i32 s7, s2, -10
	s_add_i32 s8, s8, s18
	s_mul_hi_u32 s9, s2, s7
	s_mul_i32 s20, s2, s8
	s_mul_hi_u32 s18, s2, s8
	s_mul_hi_u32 s19, s3, s7
	s_mul_i32 s7, s3, s7
	s_add_u32 s9, s9, s20
	s_addc_u32 s18, 0, s18
	s_mul_hi_u32 s21, s3, s8
	s_add_u32 s7, s9, s7
	s_mul_i32 s8, s3, s8
	s_addc_u32 s7, s18, s19
	s_addc_u32 s9, s21, 0
	s_add_u32 s7, s7, s8
	v_add_co_u32 v1, s2, s2, s7
	s_addc_u32 s7, 0, s9
	s_cmp_lg_u32 s2, 0
	s_addc_u32 s2, s3, s7
	v_readfirstlane_b32 s3, v1
	s_mul_i32 s8, s0, s2
	s_mul_hi_u32 s7, s0, s2
	s_mul_hi_u32 s9, s1, s2
	s_mul_i32 s2, s1, s2
	s_mul_hi_u32 s18, s0, s3
	s_mul_hi_u32 s19, s1, s3
	s_mul_i32 s3, s1, s3
	s_add_u32 s8, s18, s8
	s_addc_u32 s7, 0, s7
	s_add_u32 s3, s8, s3
	s_addc_u32 s3, s7, s19
	s_addc_u32 s7, s9, 0
	s_add_u32 s2, s3, s2
	s_addc_u32 s3, 0, s7
	s_mul_i32 s8, s2, 10
	s_add_u32 s7, s2, 1
	v_sub_co_u32 v1, s0, s0, s8
	s_mul_hi_u32 s8, s2, 10
	s_addc_u32 s9, s3, 0
	s_mul_i32 s18, s3, 10
	v_sub_co_u32 v2, s19, v1, 10
	s_add_u32 s20, s2, 2
	s_addc_u32 s21, s3, 0
	s_add_i32 s8, s8, s18
	s_cmp_lg_u32 s0, 0
	v_readfirstlane_b32 s0, v2
	s_subb_u32 s1, s1, s8
	s_cmp_lg_u32 s19, 0
	s_subb_u32 s8, s1, 0
	s_cmp_gt_u32 s0, 9
	s_cselect_b32 s0, -1, 0
	s_cmp_eq_u32 s8, 0
	v_readfirstlane_b32 s8, v1
	s_cselect_b32 s0, s0, -1
	s_cmp_lg_u32 s0, 0
	s_cselect_b32 s0, s20, s7
	s_cselect_b32 s9, s21, s9
	s_cmp_gt_u32 s8, 9
	s_mov_b64 s[20:21], 0
	s_cselect_b32 s7, -1, 0
	s_cmp_eq_u32 s1, 0
	s_cselect_b32 s1, s7, -1
	s_mov_b32 s7, 0
	s_cmp_lg_u32 s1, 0
	s_cselect_b32 s0, s0, s2
	s_cselect_b32 s1, s9, s3
	s_add_u32 s18, s0, 1
	s_addc_u32 s19, s1, 0
	v_cmp_lt_u64_e64 s0, s[6:7], s[18:19]
	s_and_b32 vcc_lo, exec_lo, s0
	s_cbranch_vccnz .LBB0_4
; %bb.3:
	v_cvt_f32_u32_e32 v1, s18
	s_sub_i32 s1, 0, s18
	s_mov_b32 s21, s7
	v_rcp_iflag_f32_e32 v1, v1
	v_mul_f32_e32 v1, 0x4f7ffffe, v1
	v_cvt_u32_f32_e32 v1, v1
	v_readfirstlane_b32 s0, v1
	s_mul_i32 s1, s1, s0
	s_mul_hi_u32 s1, s0, s1
	s_add_i32 s0, s0, s1
	s_mul_hi_u32 s0, s6, s0
	s_mul_i32 s1, s0, s18
	s_add_i32 s2, s0, 1
	s_sub_i32 s1, s6, s1
	s_sub_i32 s3, s1, s18
	s_cmp_ge_u32 s1, s18
	s_cselect_b32 s0, s2, s0
	s_cselect_b32 s1, s3, s1
	s_add_i32 s2, s0, 1
	s_cmp_ge_u32 s1, s18
	s_cselect_b32 s20, s2, s0
.LBB0_4:
	s_load_dwordx4 s[0:3], s[14:15], 0x0
	s_clause 0x1
	s_load_dwordx2 s[8:9], s[4:5], 0x58
	s_load_dwordx2 s[4:5], s[4:5], 0x0
	s_mul_i32 s22, s20, s19
	s_mul_hi_u32 s23, s20, s18
	s_mul_i32 s24, s20, s18
	s_add_i32 s23, s23, s22
	s_sub_u32 s34, s6, s24
	s_subb_u32 s22, 0, s23
	s_mul_hi_u32 s33, s34, 10
	s_mul_i32 s22, s22, 10
	v_cmp_lt_u64_e64 s25, s[10:11], 3
	s_mul_i32 s34, s34, 10
	s_add_i32 s33, s33, s22
	s_and_b32 vcc_lo, exec_lo, s25
	s_waitcnt lgkmcnt(0)
	s_mul_i32 s22, s2, s33
	s_mul_hi_u32 s23, s2, s34
	s_mul_i32 s24, s3, s34
	s_add_i32 s22, s23, s22
	s_mul_i32 s35, s2, s34
	s_add_i32 s36, s22, s24
	s_cbranch_vccnz .LBB0_14
; %bb.5:
	s_add_u32 s22, s14, 16
	s_addc_u32 s23, s15, 0
	s_add_u32 s12, s12, 16
	s_addc_u32 s13, s13, 0
	s_mov_b64 s[24:25], 2
	s_mov_b32 s26, 0
.LBB0_6:                                ; =>This Inner Loop Header: Depth=1
	s_load_dwordx2 s[28:29], s[12:13], 0x0
	s_waitcnt lgkmcnt(0)
	s_or_b64 s[30:31], s[20:21], s[28:29]
	s_mov_b32 s27, s31
                                        ; implicit-def: $sgpr30_sgpr31
	s_cmp_lg_u64 s[26:27], 0
	s_mov_b32 s27, -1
	s_cbranch_scc0 .LBB0_8
; %bb.7:                                ;   in Loop: Header=BB0_6 Depth=1
	v_cvt_f32_u32_e32 v1, s28
	v_cvt_f32_u32_e32 v2, s29
	s_sub_u32 s31, 0, s28
	s_subb_u32 s37, 0, s29
	v_fmac_f32_e32 v1, 0x4f800000, v2
	v_rcp_f32_e32 v1, v1
	v_mul_f32_e32 v1, 0x5f7ffffc, v1
	v_mul_f32_e32 v2, 0x2f800000, v1
	v_trunc_f32_e32 v2, v2
	v_fmac_f32_e32 v1, 0xcf800000, v2
	v_cvt_u32_f32_e32 v2, v2
	v_cvt_u32_f32_e32 v1, v1
	v_readfirstlane_b32 s27, v2
	v_readfirstlane_b32 s30, v1
	s_mul_i32 s38, s31, s27
	s_mul_hi_u32 s40, s31, s30
	s_mul_i32 s39, s37, s30
	s_add_i32 s38, s40, s38
	s_mul_i32 s41, s31, s30
	s_add_i32 s38, s38, s39
	s_mul_hi_u32 s40, s30, s41
	s_mul_hi_u32 s42, s27, s41
	s_mul_i32 s39, s27, s41
	s_mul_hi_u32 s41, s30, s38
	s_mul_i32 s30, s30, s38
	s_mul_hi_u32 s43, s27, s38
	s_add_u32 s30, s40, s30
	s_addc_u32 s40, 0, s41
	s_add_u32 s30, s30, s39
	s_mul_i32 s38, s27, s38
	s_addc_u32 s30, s40, s42
	s_addc_u32 s39, s43, 0
	s_add_u32 s30, s30, s38
	s_addc_u32 s38, 0, s39
	v_add_co_u32 v1, s30, v1, s30
	s_cmp_lg_u32 s30, 0
	s_addc_u32 s27, s27, s38
	v_readfirstlane_b32 s30, v1
	s_mul_i32 s38, s31, s27
	s_mul_hi_u32 s39, s31, s30
	s_mul_i32 s37, s37, s30
	s_add_i32 s38, s39, s38
	s_mul_i32 s31, s31, s30
	s_add_i32 s38, s38, s37
	s_mul_hi_u32 s39, s27, s31
	s_mul_i32 s40, s27, s31
	s_mul_hi_u32 s31, s30, s31
	s_mul_hi_u32 s41, s30, s38
	s_mul_i32 s30, s30, s38
	s_mul_hi_u32 s37, s27, s38
	s_add_u32 s30, s31, s30
	s_addc_u32 s31, 0, s41
	s_add_u32 s30, s30, s40
	s_mul_i32 s38, s27, s38
	s_addc_u32 s30, s31, s39
	s_addc_u32 s31, s37, 0
	s_add_u32 s30, s30, s38
	s_addc_u32 s31, 0, s31
	v_add_co_u32 v1, s30, v1, s30
	s_cmp_lg_u32 s30, 0
	s_addc_u32 s27, s27, s31
	v_readfirstlane_b32 s30, v1
	s_mul_i32 s37, s20, s27
	s_mul_hi_u32 s31, s20, s27
	s_mul_hi_u32 s38, s21, s27
	s_mul_i32 s27, s21, s27
	s_mul_hi_u32 s39, s20, s30
	s_mul_hi_u32 s40, s21, s30
	s_mul_i32 s30, s21, s30
	s_add_u32 s37, s39, s37
	s_addc_u32 s31, 0, s31
	s_add_u32 s30, s37, s30
	s_addc_u32 s30, s31, s40
	s_addc_u32 s31, s38, 0
	s_add_u32 s30, s30, s27
	s_addc_u32 s31, 0, s31
	s_mul_hi_u32 s27, s28, s30
	s_mul_i32 s38, s28, s31
	s_mul_i32 s39, s28, s30
	s_add_i32 s27, s27, s38
	v_sub_co_u32 v1, s38, s20, s39
	s_mul_i32 s37, s29, s30
	s_add_i32 s27, s27, s37
	v_sub_co_u32 v2, s39, v1, s28
	s_sub_i32 s37, s21, s27
	s_cmp_lg_u32 s38, 0
	s_subb_u32 s37, s37, s29
	s_cmp_lg_u32 s39, 0
	v_readfirstlane_b32 s39, v2
	s_subb_u32 s37, s37, 0
	s_cmp_ge_u32 s37, s29
	s_cselect_b32 s40, -1, 0
	s_cmp_ge_u32 s39, s28
	s_cselect_b32 s39, -1, 0
	s_cmp_eq_u32 s37, s29
	s_cselect_b32 s37, s39, s40
	s_add_u32 s39, s30, 1
	s_addc_u32 s40, s31, 0
	s_add_u32 s41, s30, 2
	s_addc_u32 s42, s31, 0
	s_cmp_lg_u32 s37, 0
	s_cselect_b32 s37, s41, s39
	s_cselect_b32 s39, s42, s40
	s_cmp_lg_u32 s38, 0
	v_readfirstlane_b32 s38, v1
	s_subb_u32 s27, s21, s27
	s_cmp_ge_u32 s27, s29
	s_cselect_b32 s40, -1, 0
	s_cmp_ge_u32 s38, s28
	s_cselect_b32 s38, -1, 0
	s_cmp_eq_u32 s27, s29
	s_cselect_b32 s27, s38, s40
	s_cmp_lg_u32 s27, 0
	s_mov_b32 s27, 0
	s_cselect_b32 s31, s39, s31
	s_cselect_b32 s30, s37, s30
.LBB0_8:                                ;   in Loop: Header=BB0_6 Depth=1
	s_andn2_b32 vcc_lo, exec_lo, s27
	s_cbranch_vccnz .LBB0_10
; %bb.9:                                ;   in Loop: Header=BB0_6 Depth=1
	v_cvt_f32_u32_e32 v1, s28
	s_sub_i32 s30, 0, s28
	v_rcp_iflag_f32_e32 v1, v1
	v_mul_f32_e32 v1, 0x4f7ffffe, v1
	v_cvt_u32_f32_e32 v1, v1
	v_readfirstlane_b32 s27, v1
	s_mul_i32 s30, s30, s27
	s_mul_hi_u32 s30, s27, s30
	s_add_i32 s27, s27, s30
	s_mul_hi_u32 s27, s20, s27
	s_mul_i32 s30, s27, s28
	s_add_i32 s31, s27, 1
	s_sub_i32 s30, s20, s30
	s_sub_i32 s37, s30, s28
	s_cmp_ge_u32 s30, s28
	s_cselect_b32 s27, s31, s27
	s_cselect_b32 s30, s37, s30
	s_add_i32 s31, s27, 1
	s_cmp_ge_u32 s30, s28
	s_cselect_b32 s30, s31, s27
	s_mov_b32 s31, s26
.LBB0_10:                               ;   in Loop: Header=BB0_6 Depth=1
	s_load_dwordx2 s[38:39], s[22:23], 0x0
	s_mul_i32 s19, s28, s19
	s_mul_hi_u32 s27, s28, s18
	s_mul_i32 s37, s29, s18
	s_mul_i32 s29, s30, s29
	s_mul_hi_u32 s40, s30, s28
	s_mul_i32 s41, s31, s28
	s_add_i32 s19, s27, s19
	s_add_i32 s27, s40, s29
	s_mul_i32 s42, s30, s28
	s_add_i32 s19, s19, s37
	s_add_i32 s27, s27, s41
	s_sub_u32 s20, s20, s42
	s_subb_u32 s21, s21, s27
	s_mul_i32 s18, s28, s18
	s_waitcnt lgkmcnt(0)
	s_mul_i32 s21, s38, s21
	s_mul_hi_u32 s27, s38, s20
	s_add_i32 s21, s27, s21
	s_mul_i32 s27, s39, s20
	s_mul_i32 s20, s38, s20
	s_add_i32 s21, s21, s27
	s_add_u32 s35, s20, s35
	s_addc_u32 s36, s21, s36
	s_add_u32 s24, s24, 1
	s_addc_u32 s25, s25, 0
	s_add_u32 s22, s22, 8
	v_cmp_ge_u64_e64 s20, s[24:25], s[10:11]
	s_addc_u32 s23, s23, 0
	s_add_u32 s12, s12, 8
	s_addc_u32 s13, s13, 0
	s_and_b32 vcc_lo, exec_lo, s20
	s_cbranch_vccnz .LBB0_12
; %bb.11:                               ;   in Loop: Header=BB0_6 Depth=1
	s_mov_b64 s[20:21], s[30:31]
	s_branch .LBB0_6
.LBB0_12:
	v_cmp_lt_u64_e64 s7, s[6:7], s[18:19]
	s_mov_b64 s[20:21], 0
	s_and_b32 vcc_lo, exec_lo, s7
	s_cbranch_vccnz .LBB0_14
; %bb.13:
	v_cvt_f32_u32_e32 v1, s18
	s_sub_i32 s12, 0, s18
	v_rcp_iflag_f32_e32 v1, v1
	v_mul_f32_e32 v1, 0x4f7ffffe, v1
	v_cvt_u32_f32_e32 v1, v1
	v_readfirstlane_b32 s7, v1
	s_mul_i32 s12, s12, s7
	s_mul_hi_u32 s12, s7, s12
	s_add_i32 s7, s7, s12
	s_mul_hi_u32 s7, s6, s7
	s_mul_i32 s12, s7, s18
	s_sub_i32 s6, s6, s12
	s_add_i32 s12, s7, 1
	s_sub_i32 s13, s6, s18
	s_cmp_ge_u32 s6, s18
	s_cselect_b32 s7, s12, s7
	s_cselect_b32 s6, s13, s6
	s_add_i32 s12, s7, 1
	s_cmp_ge_u32 s6, s18
	s_cselect_b32 s20, s12, s7
.LBB0_14:
	s_lshl_b64 s[6:7], s[10:11], 3
	v_mul_hi_u32 v6, 0x1999999a, v0
	s_add_u32 s6, s14, s6
	s_addc_u32 s7, s15, s7
	s_load_dwordx2 s[6:7], s[6:7], 0x0
	v_mul_u32_u24_e32 v1, 10, v6
	v_lshlrev_b32_e32 v10, 2, v6
	v_add_nc_u32_e32 v8, 48, v6
	v_add_nc_u32_e32 v5, 0x60, v6
	v_add_nc_u32_e32 v4, 0x90, v6
	v_sub_nc_u32_e32 v7, v0, v1
	v_add_co_u32 v1, s10, s34, v7
	v_add_co_ci_u32_e64 v2, null, s33, 0, s10
	v_mul_lo_u32 v9, 0x300, v7
	s_waitcnt lgkmcnt(0)
	s_mul_i32 s7, s7, s20
	s_mul_hi_u32 s10, s6, s20
	s_mul_i32 s6, s6, s20
	s_add_i32 s10, s10, s7
	s_add_u32 s6, s6, s35
	s_addc_u32 s7, s10, s36
	s_add_u32 s10, s34, 10
	s_addc_u32 s11, s33, 0
	v_cmp_gt_u64_e32 vcc_lo, s[16:17], v[1:2]
	v_cmp_le_u64_e64 s10, s[10:11], s[16:17]
	s_or_b32 s10, s10, vcc_lo
	s_and_saveexec_b32 s11, s10
	s_cbranch_execz .LBB0_16
; %bb.15:
	v_mad_u64_u32 v[1:2], null, s2, v7, 0
	v_mad_u64_u32 v[11:12], null, s0, v6, 0
	;; [unrolled: 1-line block ×5, first 2 shown]
	v_mov_b32_e32 v3, v12
	v_mad_u64_u32 v[17:18], null, s0, v4, 0
	v_mov_b32_e32 v12, v14
	s_lshl_b64 s[12:13], s[6:7], 2
	v_mad_u64_u32 v[19:20], null, s1, v6, v[3:4]
	v_mov_b32_e32 v3, v16
	v_lshlrev_b64 v[1:2], 2, v[1:2]
	v_mad_u64_u32 v[20:21], null, s1, v8, v[12:13]
	v_mov_b32_e32 v16, v18
	s_add_u32 s12, s8, s12
	v_mov_b32_e32 v12, v19
	v_mad_u64_u32 v[21:22], null, s1, v5, v[3:4]
	s_addc_u32 s13, s9, s13
	v_add_co_u32 v3, vcc_lo, s12, v1
	v_add_co_ci_u32_e32 v19, vcc_lo, s13, v2, vcc_lo
	v_lshlrev_b64 v[1:2], 2, v[11:12]
	v_mad_u64_u32 v[11:12], null, s1, v4, v[16:17]
	v_mov_b32_e32 v14, v20
	v_mov_b32_e32 v16, v21
	v_add_co_u32 v1, vcc_lo, v3, v1
	v_lshlrev_b64 v[12:13], 2, v[13:14]
	v_mov_b32_e32 v18, v11
	v_lshlrev_b64 v[14:15], 2, v[15:16]
	v_add_co_ci_u32_e32 v2, vcc_lo, v19, v2, vcc_lo
	v_add_co_u32 v11, vcc_lo, v3, v12
	v_lshlrev_b64 v[16:17], 2, v[17:18]
	v_add_co_ci_u32_e32 v12, vcc_lo, v19, v13, vcc_lo
	v_add_co_u32 v13, vcc_lo, v3, v14
	v_add_co_ci_u32_e32 v14, vcc_lo, v19, v15, vcc_lo
	v_add_co_u32 v15, vcc_lo, v3, v16
	v_add_co_ci_u32_e32 v16, vcc_lo, v19, v17, vcc_lo
	s_clause 0x3
	global_load_dword v1, v[1:2], off
	global_load_dword v2, v[11:12], off
	;; [unrolled: 1-line block ×4, first 2 shown]
	v_add3_u32 v12, 0, v9, v10
	s_waitcnt vmcnt(2)
	ds_write2_b32 v12, v1, v2 offset1:48
	s_waitcnt vmcnt(0)
	ds_write2_b32 v12, v3, v11 offset0:96 offset1:144
.LBB0_16:
	s_or_b32 exec_lo, exec_lo, s11
	s_add_u32 s11, 0, 0x99986000
	s_addc_u32 s12, 0, 0x59
	s_mul_hi_u32 s14, s11, -10
	s_add_i32 s12, s12, 0x19999940
	s_sub_i32 s14, s14, s11
	s_mul_i32 s15, s12, -10
	s_mul_i32 s13, s11, -10
	s_add_i32 s14, s14, s15
	s_mul_hi_u32 s16, s12, s13
	s_mul_i32 s15, s12, s13
	s_mul_i32 s17, s11, s14
	s_mul_hi_u32 s13, s11, s13
	s_mul_hi_u32 s18, s11, s14
	s_add_u32 s13, s13, s17
	v_mul_hi_u32 v11, 0x5555556, v0
	s_addc_u32 s17, 0, s18
	s_mul_hi_u32 s18, s12, s14
	s_add_u32 s13, s13, s15
	s_addc_u32 s13, s17, s16
	s_mul_i32 s14, s12, s14
	s_addc_u32 s15, s18, 0
	s_add_u32 s13, s13, s14
	s_waitcnt lgkmcnt(0)
	v_add_co_u32 v3, s11, s11, s13
	s_addc_u32 s13, 0, s15
	s_cmp_lg_u32 s11, 0
	v_add_co_u32 v12, s11, s34, v11
	v_add_co_ci_u32_e64 v15, null, s33, 0, s11
	s_addc_u32 s11, s12, s13
	v_mul_hi_u32 v16, v12, v3
	v_mad_u64_u32 v[1:2], null, v12, s11, 0
	v_mad_u64_u32 v[13:14], null, v15, v3, 0
	v_mul_u32_u24_e32 v11, 48, v11
	s_barrier
	buffer_gl0_inv
	v_add_co_u32 v3, vcc_lo, v16, v1
	v_add_co_ci_u32_e32 v16, vcc_lo, 0, v2, vcc_lo
	v_mad_u64_u32 v[1:2], null, v15, s11, 0
	v_add_co_u32 v3, vcc_lo, v3, v13
	v_add_co_ci_u32_e32 v3, vcc_lo, v16, v14, vcc_lo
	s_mov_b32 s11, exec_lo
	v_add_co_ci_u32_e32 v2, vcc_lo, 0, v2, vcc_lo
	v_add_co_u32 v1, vcc_lo, v3, v1
	v_add_co_ci_u32_e32 v3, vcc_lo, 0, v2, vcc_lo
	v_mad_u64_u32 v[1:2], null, v1, 10, 0
	v_mad_u64_u32 v[2:3], null, v3, 10, v[2:3]
	v_sub_co_u32 v1, vcc_lo, v12, v1
	v_sub_co_ci_u32_e32 v2, vcc_lo, v15, v2, vcc_lo
	v_sub_co_u32 v3, vcc_lo, v1, 10
	v_subrev_co_ci_u32_e32 v13, vcc_lo, 0, v2, vcc_lo
	v_cmp_lt_u32_e32 vcc_lo, 9, v3
	v_cndmask_b32_e64 v14, 0, -1, vcc_lo
	v_cmp_lt_u32_e32 vcc_lo, 9, v1
	v_cndmask_b32_e64 v15, 0, -1, vcc_lo
	v_cmp_eq_u32_e32 vcc_lo, 0, v13
	v_cndmask_b32_e32 v13, -1, v14, vcc_lo
	v_cmp_eq_u32_e32 vcc_lo, 0, v2
	v_add_nc_u32_e32 v14, -10, v3
	v_cndmask_b32_e32 v2, -1, v15, vcc_lo
	v_cmp_ne_u32_e32 vcc_lo, 0, v13
	v_sub_nc_u32_e32 v13, v0, v11
	v_cndmask_b32_e32 v3, v3, v14, vcc_lo
	v_cmp_ne_u32_e32 vcc_lo, 0, v2
	v_cndmask_b32_e32 v0, v1, v3, vcc_lo
	v_lshlrev_b32_e32 v1, 2, v13
	v_mul_u32_u24_e32 v0, 0xc0, v0
	v_add_nc_u32_e32 v22, 0, v1
	v_lshlrev_b32_e32 v15, 2, v0
	v_add_nc_u32_e32 v11, v22, v15
	v_add3_u32 v14, 0, v15, v1
	ds_read2_b32 v[0:1], v11 offset0:24 offset1:48
	ds_read2_b32 v[2:3], v11 offset0:72 offset1:96
	ds_read_b32 v18, v14
	ds_read2_b32 v[16:17], v11 offset0:120 offset1:144
	ds_read_b32 v19, v11 offset:672
	s_waitcnt lgkmcnt(0)
	s_barrier
	buffer_gl0_inv
	v_pk_add_f16 v3, v18, v3 neg_lo:[0,1] neg_hi:[0,1]
	v_pk_add_f16 v17, v1, v17 neg_lo:[0,1] neg_hi:[0,1]
	;; [unrolled: 1-line block ×4, first 2 shown]
	v_pk_fma_f16 v18, v18, 2.0, v3 op_sel_hi:[1,0,1] neg_lo:[0,0,1] neg_hi:[0,0,1]
	v_pk_fma_f16 v1, v1, 2.0, v17 op_sel_hi:[1,0,1] neg_lo:[0,0,1] neg_hi:[0,0,1]
	v_lshrrev_b32_e32 v20, 16, v3
	v_lshrrev_b32_e32 v24, 16, v16
	v_pk_fma_f16 v0, v0, 2.0, v16 op_sel_hi:[1,0,1] neg_lo:[0,0,1] neg_hi:[0,0,1]
	v_pk_fma_f16 v2, v2, 2.0, v19 op_sel_hi:[1,0,1] neg_lo:[0,0,1] neg_hi:[0,0,1]
	v_add_f16_sdwa v21, v3, v17 dst_sel:DWORD dst_unused:UNUSED_PAD src0_sel:DWORD src1_sel:WORD_1
	v_add_f16_sdwa v27, v16, v19 dst_sel:DWORD dst_unused:UNUSED_PAD src0_sel:DWORD src1_sel:WORD_1
	v_pk_add_f16 v28, v18, v1 neg_lo:[0,1] neg_hi:[0,1]
	v_sub_f16_e32 v29, v20, v17
	v_sub_f16_e32 v1, v24, v19
	v_fma_f16 v30, v3, 2.0, -v21
	v_pk_add_f16 v2, v0, v2 neg_lo:[0,1] neg_hi:[0,1]
	v_fma_f16 v16, v16, 2.0, -v27
	v_fma_f16 v31, v20, 2.0, -v29
	;; [unrolled: 1-line block ×3, first 2 shown]
	v_fmamk_f16 v23, v27, 0x39a8, v21
	v_pk_fma_f16 v18, v18, 2.0, v28 op_sel_hi:[1,0,1] neg_lo:[0,0,1] neg_hi:[0,0,1]
	v_pk_fma_f16 v0, v0, 2.0, v2 op_sel_hi:[1,0,1] neg_lo:[0,0,1] neg_hi:[0,0,1]
	v_fmamk_f16 v17, v16, 0xb9a8, v30
	v_lshrrev_b32_e32 v20, 16, v28
	v_fmamk_f16 v25, v1, 0x39a8, v29
	v_fmamk_f16 v19, v3, 0xb9a8, v31
	v_add_f16_sdwa v24, v28, v2 dst_sel:DWORD dst_unused:UNUSED_PAD src0_sel:DWORD src1_sel:WORD_1
	v_fmac_f16_e32 v23, 0x39a8, v1
	v_pk_add_f16 v1, v18, v0 neg_lo:[0,1] neg_hi:[0,1]
	v_fmac_f16_e32 v17, 0x39a8, v3
	v_sub_f16_e32 v26, v20, v2
	v_fmac_f16_e32 v25, 0xb9a8, v27
	v_fmac_f16_e32 v19, 0xb9a8, v16
	v_fma_f16 v3, v28, 2.0, -v24
	v_fma_f16 v0, v21, 2.0, -v23
	v_pk_fma_f16 v16, v18, 2.0, v1 op_sel_hi:[1,0,1] neg_lo:[0,0,1] neg_hi:[0,0,1]
	v_fma_f16 v2, v30, 2.0, -v17
	v_fma_f16 v21, v20, 2.0, -v26
	;; [unrolled: 1-line block ×4, first 2 shown]
	v_cmpx_gt_u32_e32 24, v13
	s_cbranch_execz .LBB0_18
; %bb.17:
	v_mul_i32_i24_e32 v27, 28, v13
	v_perm_b32 v28, v18, v2, 0x5040100
	v_perm_b32 v29, v20, v0, 0x5040100
	v_perm_b32 v30, v21, v3, 0x5040100
	v_perm_b32 v23, v25, v23, 0x5040100
	v_add3_u32 v22, v22, v27, v15
	v_perm_b32 v27, v19, v17, 0x5040100
	v_perm_b32 v24, v26, v24, 0x5040100
	ds_write2_b32 v22, v16, v28 offset1:1
	ds_write2_b32 v22, v30, v29 offset0:2 offset1:3
	ds_write2_b32 v22, v1, v27 offset0:4 offset1:5
	;; [unrolled: 1-line block ×3, first 2 shown]
.LBB0_18:
	s_or_b32 exec_lo, exec_lo, s11
	v_cmp_gt_u32_e32 vcc_lo, 32, v13
	v_lshrrev_b32_e32 v22, 16, v16
	v_lshrrev_b32_e32 v23, 16, v1
	s_waitcnt lgkmcnt(0)
	s_barrier
	buffer_gl0_inv
	s_and_saveexec_b32 s11, vcc_lo
	s_cbranch_execz .LBB0_20
; %bb.19:
	ds_read2_b32 v[2:3], v11 offset0:32 offset1:64
	ds_read2_b32 v[0:1], v11 offset0:96 offset1:128
	ds_read_b32 v17, v11 offset:640
	ds_read_b32 v16, v14
	s_waitcnt lgkmcnt(3)
	v_lshrrev_b32_e32 v18, 16, v2
	v_lshrrev_b32_e32 v21, 16, v3
	s_waitcnt lgkmcnt(2)
	v_lshrrev_b32_e32 v20, 16, v0
	v_lshrrev_b32_e32 v23, 16, v1
	s_waitcnt lgkmcnt(1)
	v_lshrrev_b32_e32 v19, 16, v17
	s_waitcnt lgkmcnt(0)
	v_lshrrev_b32_e32 v22, 16, v16
.LBB0_20:
	s_or_b32 exec_lo, exec_lo, s11
	s_barrier
	buffer_gl0_inv
	s_and_saveexec_b32 s11, vcc_lo
	s_cbranch_execz .LBB0_22
; %bb.21:
	v_and_b32_e32 v28, 7, v13
	v_lshrrev_b32_e32 v30, 3, v13
	v_mul_u32_u24_e32 v24, 5, v28
	v_mul_lo_u32 v30, v30, 48
	v_lshlrev_b32_e32 v29, 2, v24
	s_clause 0x1
	global_load_dwordx4 v[24:27], v29, s[4:5]
	global_load_dword v29, v29, s[4:5] offset:16
	v_or_b32_e32 v28, v30, v28
	v_lshlrev_b32_e32 v28, 2, v28
	v_add3_u32 v15, 0, v28, v15
	s_waitcnt vmcnt(1)
	v_mul_f16_sdwa v32, v23, v27 dst_sel:DWORD dst_unused:UNUSED_PAD src0_sel:DWORD src1_sel:WORD_1
	v_mul_f16_sdwa v34, v20, v26 dst_sel:DWORD dst_unused:UNUSED_PAD src0_sel:DWORD src1_sel:WORD_1
	;; [unrolled: 1-line block ×3, first 2 shown]
	s_waitcnt vmcnt(0)
	v_mul_f16_sdwa v37, v17, v29 dst_sel:DWORD dst_unused:UNUSED_PAD src0_sel:DWORD src1_sel:WORD_1
	v_mul_f16_sdwa v28, v3, v25 dst_sel:DWORD dst_unused:UNUSED_PAD src0_sel:DWORD src1_sel:WORD_1
	;; [unrolled: 1-line block ×7, first 2 shown]
	v_fmac_f16_e32 v32, v1, v27
	v_fmac_f16_e32 v34, v0, v26
	v_fma_f16 v0, v20, v26, -v36
	v_fma_f16 v1, v19, v29, -v37
	;; [unrolled: 1-line block ×4, first 2 shown]
	v_fmac_f16_e32 v31, v3, v25
	v_fmac_f16_e32 v33, v2, v24
	;; [unrolled: 1-line block ×3, first 2 shown]
	v_fma_f16 v2, v18, v24, -v38
	v_add_f16_e32 v20, v0, v1
	v_add_f16_e32 v3, v21, v23
	v_sub_f16_e32 v19, v0, v1
	v_add_f16_e32 v18, v34, v35
	v_sub_f16_e32 v24, v34, v35
	v_add_f16_e32 v25, v22, v21
	v_add_f16_e32 v0, v2, v0
	;; [unrolled: 1-line block ×3, first 2 shown]
	v_fma_f16 v2, -0.5, v20, v2
	v_add_f16_e32 v27, v16, v31
	v_add_f16_e32 v28, v33, v34
	v_sub_f16_e32 v17, v31, v32
	v_fma_f16 v3, -0.5, v3, v22
	v_fma_f16 v18, -0.5, v18, v33
	v_add_f16_e32 v20, v25, v23
	v_add_f16_e32 v0, v0, v1
	v_fma_f16 v1, -0.5, v26, v16
	v_fmamk_f16 v26, v24, 0xbaee, v2
	v_fmac_f16_e32 v2, 0x3aee, v24
	v_sub_f16_e32 v21, v21, v23
	v_add_f16_e32 v16, v27, v32
	v_add_f16_e32 v22, v28, v35
	v_fmamk_f16 v23, v17, 0xbaee, v3
	v_fmamk_f16 v25, v19, 0x3aee, v18
	v_fmac_f16_e32 v3, 0x3aee, v17
	v_fmac_f16_e32 v18, 0xbaee, v19
	v_sub_f16_e32 v17, v20, v0
	v_add_f16_e32 v0, v20, v0
	v_mul_f16_e32 v20, -0.5, v26
	v_mul_f16_e32 v24, 0.5, v2
	v_mul_f16_e32 v2, 0xbaee, v2
	v_fmamk_f16 v19, v21, 0x3aee, v1
	v_fmac_f16_e32 v1, 0xbaee, v21
	v_sub_f16_e32 v21, v16, v22
	v_add_f16_e32 v16, v16, v22
	v_mul_f16_e32 v22, 0xbaee, v26
	v_fmac_f16_e32 v20, 0x3aee, v25
	v_fmac_f16_e32 v24, 0x3aee, v18
	v_fmac_f16_e32 v2, 0.5, v18
	v_pack_b32_f16 v0, v16, v0
	v_fmac_f16_e32 v22, -0.5, v25
	v_sub_f16_e32 v16, v23, v20
	v_sub_f16_e32 v18, v3, v24
	v_add_f16_e32 v20, v23, v20
	v_add_f16_e32 v3, v3, v24
	;; [unrolled: 1-line block ×4, first 2 shown]
	v_sub_f16_e32 v1, v1, v2
	v_sub_f16_e32 v2, v19, v22
	v_pack_b32_f16 v17, v21, v17
	v_pack_b32_f16 v3, v23, v3
	;; [unrolled: 1-line block ×5, first 2 shown]
	ds_write2_b32 v15, v0, v3 offset1:8
	ds_write2_b32 v15, v19, v17 offset0:16 offset1:24
	ds_write2_b32 v15, v1, v2 offset0:32 offset1:40
.LBB0_22:
	s_or_b32 exec_lo, exec_lo, s11
	v_mul_i32_i24_e32 v0, 3, v13
	v_mov_b32_e32 v1, 0
	s_waitcnt lgkmcnt(0)
	s_barrier
	buffer_gl0_inv
	v_mul_lo_u32 v3, v13, v12
	v_lshlrev_b64 v[0:1], 2, v[0:1]
	v_mul_lo_u32 v15, v12, 48
	v_add_co_u32 v0, vcc_lo, s4, v0
	v_add_co_ci_u32_e32 v1, vcc_lo, s5, v1, vcc_lo
	v_add_nc_u32_e32 v18, v3, v15
	v_lshrrev_b32_e32 v19, 3, v3
	v_and_b32_e32 v17, 31, v3
	global_load_dwordx3 v[0:2], v[0:1], off offset:160
	v_lshrrev_b32_e32 v3, 8, v3
	v_lshrrev_b32_e32 v22, 3, v18
	v_add_nc_u32_e32 v20, v18, v15
	s_add_i32 s4, 0, 0x1e00
	v_and_b32_e32 v21, 31, v18
	v_lshrrev_b32_e32 v18, 8, v18
	v_and_b32_e32 v22, 0x7c, v22
	v_add_nc_u32_e32 v15, v20, v15
	v_and_b32_e32 v23, 31, v20
	v_lshrrev_b32_e32 v24, 3, v20
	v_and_b32_e32 v19, 0x7c, v19
	v_and_b32_e32 v3, 0x7c, v3
	v_add_nc_u32_e32 v22, s4, v22
	v_lshl_add_u32 v17, v17, 2, 0
	v_and_b32_e32 v25, 31, v15
	v_lshl_add_u32 v23, v23, 2, 0
	v_and_b32_e32 v24, 0x7c, v24
	v_and_b32_e32 v18, 0x7c, v18
	v_add_nc_u32_e32 v19, s4, v19
	ds_read2_b32 v[12:13], v11 offset0:48 offset1:96
	ds_read_b32 v14, v14
	ds_read_b32 v16, v11 offset:576
	v_add_nc_u32_e32 v3, s4, v3
	ds_read_b32 v22, v22 offset:128
	ds_read_u16 v17, v17 offset:7680
	ds_read_b32 v27, v23 offset:7680
	ds_read_u16 v23, v23 offset:7682
	ds_read_b32 v19, v19 offset:128
	v_lshl_add_u32 v21, v21, 2, 0
	v_lshrrev_b32_e32 v20, 8, v20
	v_lshl_add_u32 v25, v25, 2, 0
	v_lshrrev_b32_e32 v26, 3, v15
	v_add_nc_u32_e32 v24, s4, v24
	v_add_nc_u32_e32 v18, s4, v18
	ds_read_b32 v3, v3 offset:256
	ds_read_u16 v21, v21 offset:7680
	v_and_b32_e32 v20, 0x7c, v20
	ds_read_b32 v28, v25 offset:7680
	ds_read_b32 v24, v24 offset:128
	;; [unrolled: 1-line block ×3, first 2 shown]
	v_and_b32_e32 v26, 0x7c, v26
	v_lshrrev_b32_e32 v15, 8, v15
	v_add_nc_u32_e32 v20, s4, v20
	v_add_nc_u32_e32 v26, s4, v26
	ds_read_u16 v25, v25 offset:7682
	ds_read_b32 v20, v20 offset:256
	ds_read_b32 v26, v26 offset:128
	v_and_b32_e32 v15, 0x7c, v15
	s_waitcnt lgkmcnt(10)
	v_lshrrev_b32_e32 v32, 16, v27
	s_waitcnt lgkmcnt(8)
	v_mul_f16_sdwa v33, v17, v19 dst_sel:DWORD dst_unused:UNUSED_PAD src0_sel:DWORD src1_sel:WORD_1
	v_lshrrev_b32_e32 v29, 16, v12
	v_lshrrev_b32_e32 v30, 16, v13
	v_add_nc_u32_e32 v15, s4, v15
	v_mul_f16_sdwa v36, v32, v19 dst_sel:DWORD dst_unused:UNUSED_PAD src0_sel:DWORD src1_sel:WORD_1
	v_fmac_f16_e32 v33, v32, v19
	s_waitcnt lgkmcnt(6)
	v_mul_f16_sdwa v35, v21, v22 dst_sel:DWORD dst_unused:UNUSED_PAD src0_sel:DWORD src1_sel:WORD_1
	s_waitcnt lgkmcnt(5)
	v_lshrrev_b32_e32 v32, 16, v28
	s_waitcnt lgkmcnt(4)
	v_mul_f16_sdwa v38, v27, v24 dst_sel:DWORD dst_unused:UNUSED_PAD src0_sel:DWORD src1_sel:WORD_1
	ds_read_b32 v15, v15 offset:256
	v_mul_f16_sdwa v37, v23, v24 dst_sel:DWORD dst_unused:UNUSED_PAD src0_sel:DWORD src1_sel:WORD_1
	v_fma_f16 v17, v17, v19, -v36
	v_mul_f16_sdwa v19, v33, v3 dst_sel:DWORD dst_unused:UNUSED_PAD src0_sel:DWORD src1_sel:WORD_1
	v_mul_f16_sdwa v36, v32, v22 dst_sel:DWORD dst_unused:UNUSED_PAD src0_sel:DWORD src1_sel:WORD_1
	v_fmac_f16_e32 v35, v32, v22
	v_fmac_f16_e32 v38, v23, v24
	v_lshrrev_b32_e32 v31, 16, v16
	v_fma_f16 v27, v27, v24, -v37
	s_waitcnt lgkmcnt(1)
	v_mul_f16_sdwa v23, v25, v26 dst_sel:DWORD dst_unused:UNUSED_PAD src0_sel:DWORD src1_sel:WORD_1
	v_mul_f16_sdwa v24, v28, v26 dst_sel:DWORD dst_unused:UNUSED_PAD src0_sel:DWORD src1_sel:WORD_1
	v_fma_f16 v19, v3, v17, -v19
	v_mul_f16_sdwa v17, v17, v3 dst_sel:DWORD dst_unused:UNUSED_PAD src0_sel:DWORD src1_sel:WORD_1
	v_fma_f16 v21, v21, v22, -v36
	v_mul_f16_sdwa v22, v35, v18 dst_sel:DWORD dst_unused:UNUSED_PAD src0_sel:DWORD src1_sel:WORD_1
	v_mul_f16_sdwa v32, v38, v20 dst_sel:DWORD dst_unused:UNUSED_PAD src0_sel:DWORD src1_sel:WORD_1
	;; [unrolled: 1-line block ×3, first 2 shown]
	v_fma_f16 v23, v28, v26, -v23
	v_fmac_f16_e32 v24, v25, v26
	v_fmac_f16_e32 v17, v3, v33
	v_fma_f16 v3, v18, v21, -v22
	v_fma_f16 v22, v20, v27, -v32
	v_lshrrev_b32_e32 v34, 16, v14
	v_mul_f16_sdwa v21, v21, v18 dst_sel:DWORD dst_unused:UNUSED_PAD src0_sel:DWORD src1_sel:WORD_1
	v_fmac_f16_e32 v36, v20, v38
	s_waitcnt lgkmcnt(0)
	v_mul_f16_sdwa v20, v24, v15 dst_sel:DWORD dst_unused:UNUSED_PAD src0_sel:DWORD src1_sel:WORD_1
	v_mul_f16_sdwa v25, v23, v15 dst_sel:DWORD dst_unused:UNUSED_PAD src0_sel:DWORD src1_sel:WORD_1
	s_waitcnt vmcnt(0)
	v_fmac_f16_e32 v21, v18, v35
	s_barrier
	buffer_gl0_inv
	v_fmac_f16_e32 v25, v15, v24
	v_mul_f16_sdwa v26, v0, v29 dst_sel:DWORD dst_unused:UNUSED_PAD src0_sel:WORD_1 src1_sel:DWORD
	v_mul_f16_sdwa v27, v0, v12 dst_sel:DWORD dst_unused:UNUSED_PAD src0_sel:WORD_1 src1_sel:DWORD
	;; [unrolled: 1-line block ×6, first 2 shown]
	v_fmac_f16_e32 v26, v0, v12
	v_fma_f16 v0, v0, v29, -v27
	v_fmac_f16_e32 v28, v1, v13
	v_fma_f16 v1, v1, v30, -v32
	;; [unrolled: 2-line block ×3, first 2 shown]
	v_fma_f16 v16, v15, v23, -v20
	v_sub_f16_e32 v12, v14, v28
	v_sub_f16_e32 v1, v34, v1
	;; [unrolled: 1-line block ×4, first 2 shown]
	v_fma_f16 v14, v14, 2.0, -v12
	v_fma_f16 v18, v34, 2.0, -v1
	;; [unrolled: 1-line block ×4, first 2 shown]
	v_add_f16_e32 v2, v12, v2
	v_sub_f16_e32 v13, v1, v13
	v_sub_f16_e32 v15, v14, v20
	;; [unrolled: 1-line block ×3, first 2 shown]
	v_fma_f16 v12, v12, 2.0, -v2
	v_fma_f16 v1, v1, 2.0, -v13
	v_mul_f16_e32 v20, v13, v25
	v_mul_f16_e32 v23, v2, v25
	v_fma_f16 v14, v14, 2.0, -v15
	v_fma_f16 v18, v18, 2.0, -v0
	v_mul_f16_e32 v25, v0, v36
	v_mul_f16_e32 v26, v15, v36
	;; [unrolled: 1-line block ×4, first 2 shown]
	v_fmac_f16_e32 v20, v2, v16
	v_fma_f16 v2, v13, v16, -v23
	v_mul_f16_e32 v13, v18, v17
	v_mul_f16_e32 v16, v14, v17
	v_fmac_f16_e32 v25, v15, v22
	v_fma_f16 v0, v0, v22, -v26
	v_fmac_f16_e32 v24, v12, v3
	v_fma_f16 v1, v1, v3, -v21
	v_fmac_f16_e32 v13, v14, v19
	v_fma_f16 v3, v18, v19, -v16
	v_pack_b32_f16 v2, v20, v2
	v_pack_b32_f16 v0, v25, v0
	;; [unrolled: 1-line block ×4, first 2 shown]
	ds_write2_b32 v11, v0, v2 offset0:96 offset1:144
	ds_write2_b32 v11, v3, v1 offset1:48
	s_waitcnt lgkmcnt(0)
	s_barrier
	buffer_gl0_inv
	s_and_saveexec_b32 s4, s10
	s_cbranch_execz .LBB0_24
; %bb.23:
	v_mad_u64_u32 v[0:1], null, s2, v7, 0
	v_mad_u64_u32 v[2:3], null, s0, v6, 0
	v_mad_u64_u32 v[11:12], null, s0, v8, 0
	v_add3_u32 v17, 0, v9, v10
	v_mad_u64_u32 v[13:14], null, s0, v5, 0
	s_lshl_b64 s[4:5], s[6:7], 2
	v_mad_u64_u32 v[9:10], null, s3, v7, v[1:2]
	v_mad_u64_u32 v[6:7], null, s1, v6, v[3:4]
	v_mov_b32_e32 v1, v12
	ds_read2_b32 v[15:16], v17 offset1:48
	v_mad_u64_u32 v[7:8], null, s1, v8, v[1:2]
	v_mov_b32_e32 v1, v9
	v_mad_u64_u32 v[8:9], null, s0, v4, 0
	v_mov_b32_e32 v3, v6
	v_mov_b32_e32 v6, v14
	v_lshlrev_b64 v[0:1], 2, v[0:1]
	s_add_u32 s0, s8, s4
	v_mov_b32_e32 v12, v7
	s_addc_u32 s2, s9, s5
	v_mad_u64_u32 v[5:6], null, s1, v5, v[6:7]
	v_mov_b32_e32 v6, v9
	v_add_co_u32 v18, vcc_lo, s0, v0
	v_add_co_ci_u32_e32 v19, vcc_lo, s2, v1, vcc_lo
	v_mad_u64_u32 v[6:7], null, s1, v4, v[6:7]
	v_lshlrev_b64 v[0:1], 2, v[2:3]
	v_mov_b32_e32 v14, v5
	ds_read2_b32 v[4:5], v17 offset0:96 offset1:144
	v_lshlrev_b64 v[2:3], 2, v[11:12]
	v_mov_b32_e32 v9, v6
	v_add_co_u32 v0, vcc_lo, v18, v0
	v_lshlrev_b64 v[10:11], 2, v[13:14]
	v_add_co_ci_u32_e32 v1, vcc_lo, v19, v1, vcc_lo
	v_add_co_u32 v2, vcc_lo, v18, v2
	v_lshlrev_b64 v[6:7], 2, v[8:9]
	v_add_co_ci_u32_e32 v3, vcc_lo, v19, v3, vcc_lo
	v_add_co_u32 v8, vcc_lo, v18, v10
	v_add_co_ci_u32_e32 v9, vcc_lo, v19, v11, vcc_lo
	v_add_co_u32 v6, vcc_lo, v18, v6
	v_add_co_ci_u32_e32 v7, vcc_lo, v19, v7, vcc_lo
	s_waitcnt lgkmcnt(1)
	global_store_dword v[0:1], v15, off
	global_store_dword v[2:3], v16, off
	s_waitcnt lgkmcnt(0)
	global_store_dword v[8:9], v4, off
	global_store_dword v[6:7], v5, off
.LBB0_24:
	s_endpgm
	.section	.rodata,"a",@progbits
	.p2align	6, 0x0
	.amdhsa_kernel fft_rtc_back_len192_factors_8_6_4_wgs_480_tpt_48_half_ip_CI_sbcc_twdbase5_3step
		.amdhsa_group_segment_fixed_size 0
		.amdhsa_private_segment_fixed_size 0
		.amdhsa_kernarg_size 96
		.amdhsa_user_sgpr_count 6
		.amdhsa_user_sgpr_private_segment_buffer 1
		.amdhsa_user_sgpr_dispatch_ptr 0
		.amdhsa_user_sgpr_queue_ptr 0
		.amdhsa_user_sgpr_kernarg_segment_ptr 1
		.amdhsa_user_sgpr_dispatch_id 0
		.amdhsa_user_sgpr_flat_scratch_init 0
		.amdhsa_user_sgpr_private_segment_size 0
		.amdhsa_wavefront_size32 1
		.amdhsa_uses_dynamic_stack 0
		.amdhsa_system_sgpr_private_segment_wavefront_offset 0
		.amdhsa_system_sgpr_workgroup_id_x 1
		.amdhsa_system_sgpr_workgroup_id_y 0
		.amdhsa_system_sgpr_workgroup_id_z 0
		.amdhsa_system_sgpr_workgroup_info 0
		.amdhsa_system_vgpr_workitem_id 0
		.amdhsa_next_free_vgpr 39
		.amdhsa_next_free_sgpr 44
		.amdhsa_reserve_vcc 1
		.amdhsa_reserve_flat_scratch 0
		.amdhsa_float_round_mode_32 0
		.amdhsa_float_round_mode_16_64 0
		.amdhsa_float_denorm_mode_32 3
		.amdhsa_float_denorm_mode_16_64 3
		.amdhsa_dx10_clamp 1
		.amdhsa_ieee_mode 1
		.amdhsa_fp16_overflow 0
		.amdhsa_workgroup_processor_mode 1
		.amdhsa_memory_ordered 1
		.amdhsa_forward_progress 0
		.amdhsa_shared_vgpr_count 0
		.amdhsa_exception_fp_ieee_invalid_op 0
		.amdhsa_exception_fp_denorm_src 0
		.amdhsa_exception_fp_ieee_div_zero 0
		.amdhsa_exception_fp_ieee_overflow 0
		.amdhsa_exception_fp_ieee_underflow 0
		.amdhsa_exception_fp_ieee_inexact 0
		.amdhsa_exception_int_div_zero 0
	.end_amdhsa_kernel
	.text
.Lfunc_end0:
	.size	fft_rtc_back_len192_factors_8_6_4_wgs_480_tpt_48_half_ip_CI_sbcc_twdbase5_3step, .Lfunc_end0-fft_rtc_back_len192_factors_8_6_4_wgs_480_tpt_48_half_ip_CI_sbcc_twdbase5_3step
                                        ; -- End function
	.section	.AMDGPU.csdata,"",@progbits
; Kernel info:
; codeLenInByte = 4820
; NumSgprs: 46
; NumVgprs: 39
; ScratchSize: 0
; MemoryBound: 0
; FloatMode: 240
; IeeeMode: 1
; LDSByteSize: 0 bytes/workgroup (compile time only)
; SGPRBlocks: 5
; VGPRBlocks: 4
; NumSGPRsForWavesPerEU: 46
; NumVGPRsForWavesPerEU: 39
; Occupancy: 15
; WaveLimiterHint : 1
; COMPUTE_PGM_RSRC2:SCRATCH_EN: 0
; COMPUTE_PGM_RSRC2:USER_SGPR: 6
; COMPUTE_PGM_RSRC2:TRAP_HANDLER: 0
; COMPUTE_PGM_RSRC2:TGID_X_EN: 1
; COMPUTE_PGM_RSRC2:TGID_Y_EN: 0
; COMPUTE_PGM_RSRC2:TGID_Z_EN: 0
; COMPUTE_PGM_RSRC2:TIDIG_COMP_CNT: 0
	.text
	.p2alignl 6, 3214868480
	.fill 48, 4, 3214868480
	.type	__hip_cuid_7322b878c3ff7b5f,@object ; @__hip_cuid_7322b878c3ff7b5f
	.section	.bss,"aw",@nobits
	.globl	__hip_cuid_7322b878c3ff7b5f
__hip_cuid_7322b878c3ff7b5f:
	.byte	0                               ; 0x0
	.size	__hip_cuid_7322b878c3ff7b5f, 1

	.ident	"AMD clang version 19.0.0git (https://github.com/RadeonOpenCompute/llvm-project roc-6.4.0 25133 c7fe45cf4b819c5991fe208aaa96edf142730f1d)"
	.section	".note.GNU-stack","",@progbits
	.addrsig
	.addrsig_sym __hip_cuid_7322b878c3ff7b5f
	.amdgpu_metadata
---
amdhsa.kernels:
  - .args:
      - .actual_access:  read_only
        .address_space:  global
        .offset:         0
        .size:           8
        .value_kind:     global_buffer
      - .address_space:  global
        .offset:         8
        .size:           8
        .value_kind:     global_buffer
      - .offset:         16
        .size:           8
        .value_kind:     by_value
      - .actual_access:  read_only
        .address_space:  global
        .offset:         24
        .size:           8
        .value_kind:     global_buffer
      - .actual_access:  read_only
        .address_space:  global
        .offset:         32
        .size:           8
        .value_kind:     global_buffer
      - .offset:         40
        .size:           8
        .value_kind:     by_value
      - .actual_access:  read_only
        .address_space:  global
        .offset:         48
        .size:           8
        .value_kind:     global_buffer
      - .actual_access:  read_only
        .address_space:  global
        .offset:         56
        .size:           8
        .value_kind:     global_buffer
      - .offset:         64
        .size:           4
        .value_kind:     by_value
      - .actual_access:  read_only
        .address_space:  global
        .offset:         72
        .size:           8
        .value_kind:     global_buffer
      - .actual_access:  read_only
        .address_space:  global
        .offset:         80
        .size:           8
        .value_kind:     global_buffer
      - .address_space:  global
        .offset:         88
        .size:           8
        .value_kind:     global_buffer
    .group_segment_fixed_size: 0
    .kernarg_segment_align: 8
    .kernarg_segment_size: 96
    .language:       OpenCL C
    .language_version:
      - 2
      - 0
    .max_flat_workgroup_size: 480
    .name:           fft_rtc_back_len192_factors_8_6_4_wgs_480_tpt_48_half_ip_CI_sbcc_twdbase5_3step
    .private_segment_fixed_size: 0
    .sgpr_count:     46
    .sgpr_spill_count: 0
    .symbol:         fft_rtc_back_len192_factors_8_6_4_wgs_480_tpt_48_half_ip_CI_sbcc_twdbase5_3step.kd
    .uniform_work_group_size: 1
    .uses_dynamic_stack: false
    .vgpr_count:     39
    .vgpr_spill_count: 0
    .wavefront_size: 32
    .workgroup_processor_mode: 1
amdhsa.target:   amdgcn-amd-amdhsa--gfx1030
amdhsa.version:
  - 1
  - 2
...

	.end_amdgpu_metadata
